;; amdgpu-corpus repo=ROCm/rocBLAS kind=compiled arch=gfx1250 opt=O3
	.amdgcn_target "amdgcn-amd-amdhsa--gfx1250"
	.amdhsa_code_object_version 6
	.section	.text._ZL19rocblas_spr2_kernelILi128ELi8ELi2E24rocblas_internal_val_ptrIfEPKfPfEvbbiT2_T3_lllS6_lllT4_lli,"axG",@progbits,_ZL19rocblas_spr2_kernelILi128ELi8ELi2E24rocblas_internal_val_ptrIfEPKfPfEvbbiT2_T3_lllS6_lllT4_lli,comdat
	.globl	_ZL19rocblas_spr2_kernelILi128ELi8ELi2E24rocblas_internal_val_ptrIfEPKfPfEvbbiT2_T3_lllS6_lllT4_lli ; -- Begin function _ZL19rocblas_spr2_kernelILi128ELi8ELi2E24rocblas_internal_val_ptrIfEPKfPfEvbbiT2_T3_lllS6_lllT4_lli
	.p2align	8
	.type	_ZL19rocblas_spr2_kernelILi128ELi8ELi2E24rocblas_internal_val_ptrIfEPKfPfEvbbiT2_T3_lllS6_lllT4_lli,@function
_ZL19rocblas_spr2_kernelILi128ELi8ELi2E24rocblas_internal_val_ptrIfEPKfPfEvbbiT2_T3_lllS6_lllT4_lli: ; @_ZL19rocblas_spr2_kernelILi128ELi8ELi2E24rocblas_internal_val_ptrIfEPKfPfEvbbiT2_T3_lllS6_lllT4_lli
; %bb.0:
	s_clause 0x1
	s_load_b32 s2, s[0:1], 0x0
	s_load_b512 s[4:19], s[0:1], 0x8
	s_wait_kmcnt 0x0
	s_bitcmp0_b32 s2, 0
	s_mov_b32 s2, 0
	s_cbranch_scc0 .LBB0_2
; %bb.1:
	s_load_b32 s28, s[4:5], 0x0
	s_and_not1_b32 vcc_lo, exec_lo, s2
	s_cbranch_vccz .LBB0_3
	s_branch .LBB0_4
.LBB0_2:
                                        ; implicit-def: $sgpr28
.LBB0_3:
	s_wait_kmcnt 0x0
	s_mov_b32 s28, s4
.LBB0_4:
	s_wait_kmcnt 0x0
	s_cmp_eq_f32 s28, 0
	s_cbranch_scc1 .LBB0_20
; %bb.5:
	s_load_b32 s33, s[0:1], 0x68
	s_bfe_u32 s2, ttmp6, 0x40014
	s_lshr_b32 s3, ttmp7, 16
	s_add_co_i32 s2, s2, 1
	s_bfe_u32 s4, ttmp6, 0x40008
	s_mul_i32 s2, s3, s2
	s_getreg_b32 s5, hwreg(HW_REG_IB_STS2, 6, 4)
	s_add_co_i32 s4, s4, s2
	s_cmp_eq_u32 s5, 0
	s_cselect_b32 s4, s3, s4
	s_wait_kmcnt 0x0
	s_cmp_ge_u32 s4, s33
	s_cbranch_scc1 .LBB0_20
; %bb.6:
	s_clause 0x1
	s_load_b256 s[20:27], s[0:1], 0x48
	s_load_b64 s[30:31], s[0:1], 0x0
	s_lshl_b64 s[8:9], s[8:9], 2
	s_wait_xcnt 0x0
	s_lshl_b64 s[0:1], s[16:17], 2
	v_bfe_u32 v1, v0, 10, 10
	v_and_b32_e32 v0, 0x3ff, v0
	s_add_nc_u64 s[6:7], s[6:7], s[8:9]
	s_add_nc_u64 s[8:9], s[14:15], s[0:1]
	s_wait_kmcnt 0x0
	s_lshl_b64 s[2:3], s[24:25], 2
	s_bitcmp1_b32 s30, 8
	s_cselect_b32 vcc_lo, -1, 0
	s_bfe_u32 s24, ttmp6, 0x40010
	s_bfe_u32 s30, ttmp6, 0x4000c
	s_and_b32 s17, ttmp7, 0xffff
	s_add_co_i32 s24, s24, 1
	s_add_co_i32 s30, s30, 1
	s_bfe_u32 s25, ttmp6, 0x40004
	s_and_b32 s29, ttmp6, 15
	s_mul_i32 s24, s17, s24
	s_mul_i32 s30, ttmp9, s30
	s_xor_b32 s16, vcc_lo, -1
	s_add_co_i32 s25, s25, s24
	s_add_co_i32 s29, s29, s30
	s_cmp_eq_u32 s5, 0
	s_cselect_b32 s5, s17, s25
	s_delay_alu instid0(SALU_CYCLE_1)
	v_lshl_add_u32 v14, s5, 3, v1
	s_cselect_b32 s5, ttmp9, s29
	s_lshl_b32 s17, s31, 1
	v_lshl_add_u32 v12, s5, 8, v0
	s_mov_b32 s5, 0
	v_dual_sub_nc_u32 v0, s17, v14 :: v_dual_ashrrev_i32 v15, 31, v14
	v_mad_u32 v18, v14, v14, v14
	s_delay_alu instid0(VALU_DEP_3) | instskip(SKIP_1) | instid1(VALU_DEP_4)
	v_add_nc_u32_e32 v16, 0x80, v12
	v_cmp_gt_i32_e64 s0, s31, v12
	v_mad_u32 v19, v14, v0, v14
	v_ashrrev_i32_e32 v13, 31, v12
	v_mul_u64_e32 v[0:1], s[18:19], v[14:15]
	v_ashrrev_i32_e32 v17, 31, v16
	v_mul_u64_e32 v[2:3], s[10:11], v[14:15]
	v_cmp_ge_i32_e64 s1, v12, v14
	s_mov_b32 s29, s28
	s_and_b32 s17, s1, s0
	v_lshrrev_b32_e32 v15, 31, v19
	v_mul_u64_e32 v[4:5], s[10:11], v[12:13]
	v_mul_u64_e32 v[6:7], s[18:19], v[12:13]
	v_lshrrev_b32_e32 v13, 31, v18
	v_mul_u64_e32 v[8:9], s[10:11], v[16:17]
	v_mul_u64_e32 v[10:11], s[18:19], v[16:17]
	v_add_nc_u32_e32 v15, v19, v15
	s_add_nc_u64 s[10:11], s[22:23], s[2:3]
	v_dual_add_nc_u32 v13, v18, v13 :: v_dual_sub_nc_u32 v17, v12, v14
	v_cmp_le_i32_e64 s3, v12, v14
	v_cmp_gt_i32_e64 s2, s31, v14
	v_cmp_le_i32_e64 s0, v14, v16
	s_delay_alu instid0(VALU_DEP_4)
	v_dual_ashrrev_i32 v13, 1, v13 :: v_dual_ashrrev_i32 v15, 1, v15
	v_cmp_le_i32_e64 s1, v16, v14
	s_and_b32 s18, s3, s2
	v_add_nc_u32_e32 v13, v13, v12
	v_add_nc_u32_e32 v15, v17, v15
	s_and_b32 s22, s2, s1
	s_delay_alu instid0(VALU_DEP_1) | instskip(SKIP_1) | instid1(VALU_DEP_2)
	v_cndmask_b32_e32 v12, v15, v13, vcc_lo
	v_cmp_gt_i32_e32 vcc_lo, s31, v16
	v_ashrrev_i32_e32 v13, 31, v12
	s_and_b32 s19, s0, vcc_lo
	s_branch .LBB0_8
.LBB0_7:                                ;   in Loop: Header=BB0_8 Depth=1
	s_wait_xcnt 0x0
	s_or_b32 exec_lo, exec_lo, s23
	s_add_co_i32 s4, s4, 0x10000
	s_delay_alu instid0(SALU_CYCLE_1)
	s_cmp_lt_u32 s4, s33
	s_cbranch_scc0 .LBB0_20
.LBB0_8:                                ; =>This Inner Loop Header: Depth=1
	s_and_b32 vcc_lo, exec_lo, s16
	s_mov_b32 s23, 0
	s_mov_b32 s0, -1
	s_cbranch_vccz .LBB0_10
; %bb.9:                                ;   in Loop: Header=BB0_8 Depth=1
	s_mov_b32 s0, 0
	s_and_b32 s23, s17, exec_lo
.LBB0_10:                               ;   in Loop: Header=BB0_8 Depth=1
	s_and_not1_b32 vcc_lo, exec_lo, s0
	s_cbranch_vccnz .LBB0_12
; %bb.11:                               ;   in Loop: Header=BB0_8 Depth=1
	s_and_not1_b32 s0, s23, exec_lo
	s_and_b32 s1, s18, exec_lo
	s_delay_alu instid0(SALU_CYCLE_1)
	s_or_b32 s23, s0, s1
.LBB0_12:                               ;   in Loop: Header=BB0_8 Depth=1
	s_mul_u64 s[2:3], s[20:21], s[4:5]
	s_mul_u64 s[14:15], s[12:13], s[4:5]
	s_lshl_b64 s[2:3], s[2:3], 2
	s_lshl_b64 s[14:15], s[14:15], 2
	s_add_nc_u64 s[2:3], s[8:9], s[2:3]
	s_add_nc_u64 s[14:15], s[6:7], s[14:15]
	s_mul_u64 s[0:1], s[26:27], s[4:5]
	v_lshl_add_u64 v[14:15], v[0:1], 2, s[2:3]
	v_lshl_add_u64 v[16:17], v[2:3], 2, s[14:15]
	s_lshl_b64 s[0:1], s[0:1], 2
	s_delay_alu instid0(SALU_CYCLE_1)
	s_add_nc_u64 s[0:1], s[10:11], s[0:1]
	s_and_saveexec_b32 s24, s23
	s_cbranch_execz .LBB0_14
; %bb.13:                               ;   in Loop: Header=BB0_8 Depth=1
	v_lshl_add_u64 v[18:19], v[4:5], 2, s[14:15]
	v_lshl_add_u64 v[20:21], v[6:7], 2, s[2:3]
	global_load_b32 v22, v[18:19], off
	s_clause 0x1
	global_load_b32 v23, v[20:21], off
	global_load_b32 v24, v[14:15], off
	;; [unrolled: 1-line block ×3, first 2 shown]
	s_wait_xcnt 0x3
	v_lshl_add_u64 v[18:19], v[12:13], 2, s[0:1]
	s_wait_xcnt 0x2
	v_mov_b64_e32 v[20:21], s[28:29]
	global_load_b32 v26, v[18:19], off
	s_wait_loadcnt 0x3
	v_pk_mul_f32 v[20:21], v[20:21], v[22:23]
	s_wait_loadcnt 0x1
	s_delay_alu instid0(VALU_DEP_1) | instskip(NEXT) | instid1(VALU_DEP_1)
	v_pk_mul_f32 v[20:21], v[20:21], v[24:25]
	v_add_f32_e32 v20, v20, v21
	s_wait_loadcnt 0x0
	s_delay_alu instid0(VALU_DEP_1)
	v_add_f32_e32 v20, v26, v20
	global_store_b32 v[18:19], v20, off
.LBB0_14:                               ;   in Loop: Header=BB0_8 Depth=1
	s_wait_xcnt 0x0
	s_or_b32 exec_lo, exec_lo, s24
	s_delay_alu instid0(SALU_CYCLE_1)
	s_and_not1_b32 vcc_lo, exec_lo, s16
	s_cbranch_vccnz .LBB0_19
; %bb.15:                               ;   in Loop: Header=BB0_8 Depth=1
	s_and_b32 s24, s19, exec_lo
	s_cbranch_execnz .LBB0_17
.LBB0_16:                               ;   in Loop: Header=BB0_8 Depth=1
	s_and_not1_b32 s23, s24, exec_lo
	s_and_b32 s24, s22, exec_lo
	s_delay_alu instid0(SALU_CYCLE_1)
	s_or_b32 s24, s23, s24
.LBB0_17:                               ;   in Loop: Header=BB0_8 Depth=1
	s_delay_alu instid0(SALU_CYCLE_1)
	s_and_saveexec_b32 s23, s24
	s_cbranch_execz .LBB0_7
; %bb.18:                               ;   in Loop: Header=BB0_8 Depth=1
	v_lshl_add_u64 v[18:19], v[8:9], 2, s[14:15]
	v_lshl_add_u64 v[20:21], v[10:11], 2, s[2:3]
	global_load_b32 v22, v[18:19], off
	s_clause 0x1
	global_load_b32 v23, v[20:21], off
	global_load_b32 v24, v[14:15], off
	;; [unrolled: 1-line block ×3, first 2 shown]
	s_wait_xcnt 0x1
	v_lshl_add_u64 v[14:15], v[12:13], 2, s[0:1]
	s_wait_xcnt 0x0
	v_mov_b64_e32 v[16:17], s[28:29]
	global_load_b32 v18, v[14:15], off offset:512
	s_wait_loadcnt 0x3
	v_pk_mul_f32 v[16:17], v[16:17], v[22:23]
	s_wait_loadcnt 0x1
	s_delay_alu instid0(VALU_DEP_1) | instskip(NEXT) | instid1(VALU_DEP_1)
	v_pk_mul_f32 v[16:17], v[16:17], v[24:25]
	v_add_f32_e32 v16, v16, v17
	s_wait_loadcnt 0x0
	s_delay_alu instid0(VALU_DEP_1)
	v_add_f32_e32 v16, v18, v16
	global_store_b32 v[14:15], v16, off offset:512
	s_branch .LBB0_7
.LBB0_19:                               ;   in Loop: Header=BB0_8 Depth=1
	s_mov_b32 s24, 0
	s_branch .LBB0_16
.LBB0_20:
	s_endpgm
	.section	.rodata,"a",@progbits
	.p2align	6, 0x0
	.amdhsa_kernel _ZL19rocblas_spr2_kernelILi128ELi8ELi2E24rocblas_internal_val_ptrIfEPKfPfEvbbiT2_T3_lllS6_lllT4_lli
		.amdhsa_group_segment_fixed_size 0
		.amdhsa_private_segment_fixed_size 0
		.amdhsa_kernarg_size 108
		.amdhsa_user_sgpr_count 2
		.amdhsa_user_sgpr_dispatch_ptr 0
		.amdhsa_user_sgpr_queue_ptr 0
		.amdhsa_user_sgpr_kernarg_segment_ptr 1
		.amdhsa_user_sgpr_dispatch_id 0
		.amdhsa_user_sgpr_kernarg_preload_length 0
		.amdhsa_user_sgpr_kernarg_preload_offset 0
		.amdhsa_user_sgpr_private_segment_size 0
		.amdhsa_wavefront_size32 1
		.amdhsa_uses_dynamic_stack 0
		.amdhsa_enable_private_segment 0
		.amdhsa_system_sgpr_workgroup_id_x 1
		.amdhsa_system_sgpr_workgroup_id_y 1
		.amdhsa_system_sgpr_workgroup_id_z 1
		.amdhsa_system_sgpr_workgroup_info 0
		.amdhsa_system_vgpr_workitem_id 1
		.amdhsa_next_free_vgpr 27
		.amdhsa_next_free_sgpr 34
		.amdhsa_named_barrier_count 0
		.amdhsa_reserve_vcc 1
		.amdhsa_float_round_mode_32 0
		.amdhsa_float_round_mode_16_64 0
		.amdhsa_float_denorm_mode_32 3
		.amdhsa_float_denorm_mode_16_64 3
		.amdhsa_fp16_overflow 0
		.amdhsa_memory_ordered 1
		.amdhsa_forward_progress 1
		.amdhsa_inst_pref_size 9
		.amdhsa_round_robin_scheduling 0
		.amdhsa_exception_fp_ieee_invalid_op 0
		.amdhsa_exception_fp_denorm_src 0
		.amdhsa_exception_fp_ieee_div_zero 0
		.amdhsa_exception_fp_ieee_overflow 0
		.amdhsa_exception_fp_ieee_underflow 0
		.amdhsa_exception_fp_ieee_inexact 0
		.amdhsa_exception_int_div_zero 0
	.end_amdhsa_kernel
	.section	.text._ZL19rocblas_spr2_kernelILi128ELi8ELi2E24rocblas_internal_val_ptrIfEPKfPfEvbbiT2_T3_lllS6_lllT4_lli,"axG",@progbits,_ZL19rocblas_spr2_kernelILi128ELi8ELi2E24rocblas_internal_val_ptrIfEPKfPfEvbbiT2_T3_lllS6_lllT4_lli,comdat
.Lfunc_end0:
	.size	_ZL19rocblas_spr2_kernelILi128ELi8ELi2E24rocblas_internal_val_ptrIfEPKfPfEvbbiT2_T3_lllS6_lllT4_lli, .Lfunc_end0-_ZL19rocblas_spr2_kernelILi128ELi8ELi2E24rocblas_internal_val_ptrIfEPKfPfEvbbiT2_T3_lllS6_lllT4_lli
                                        ; -- End function
	.set _ZL19rocblas_spr2_kernelILi128ELi8ELi2E24rocblas_internal_val_ptrIfEPKfPfEvbbiT2_T3_lllS6_lllT4_lli.num_vgpr, 27
	.set _ZL19rocblas_spr2_kernelILi128ELi8ELi2E24rocblas_internal_val_ptrIfEPKfPfEvbbiT2_T3_lllS6_lllT4_lli.num_agpr, 0
	.set _ZL19rocblas_spr2_kernelILi128ELi8ELi2E24rocblas_internal_val_ptrIfEPKfPfEvbbiT2_T3_lllS6_lllT4_lli.numbered_sgpr, 34
	.set _ZL19rocblas_spr2_kernelILi128ELi8ELi2E24rocblas_internal_val_ptrIfEPKfPfEvbbiT2_T3_lllS6_lllT4_lli.num_named_barrier, 0
	.set _ZL19rocblas_spr2_kernelILi128ELi8ELi2E24rocblas_internal_val_ptrIfEPKfPfEvbbiT2_T3_lllS6_lllT4_lli.private_seg_size, 0
	.set _ZL19rocblas_spr2_kernelILi128ELi8ELi2E24rocblas_internal_val_ptrIfEPKfPfEvbbiT2_T3_lllS6_lllT4_lli.uses_vcc, 1
	.set _ZL19rocblas_spr2_kernelILi128ELi8ELi2E24rocblas_internal_val_ptrIfEPKfPfEvbbiT2_T3_lllS6_lllT4_lli.uses_flat_scratch, 0
	.set _ZL19rocblas_spr2_kernelILi128ELi8ELi2E24rocblas_internal_val_ptrIfEPKfPfEvbbiT2_T3_lllS6_lllT4_lli.has_dyn_sized_stack, 0
	.set _ZL19rocblas_spr2_kernelILi128ELi8ELi2E24rocblas_internal_val_ptrIfEPKfPfEvbbiT2_T3_lllS6_lllT4_lli.has_recursion, 0
	.set _ZL19rocblas_spr2_kernelILi128ELi8ELi2E24rocblas_internal_val_ptrIfEPKfPfEvbbiT2_T3_lllS6_lllT4_lli.has_indirect_call, 0
	.section	.AMDGPU.csdata,"",@progbits
; Kernel info:
; codeLenInByte = 1052
; TotalNumSgprs: 36
; NumVgprs: 27
; ScratchSize: 0
; MemoryBound: 0
; FloatMode: 240
; IeeeMode: 1
; LDSByteSize: 0 bytes/workgroup (compile time only)
; SGPRBlocks: 0
; VGPRBlocks: 1
; NumSGPRsForWavesPerEU: 36
; NumVGPRsForWavesPerEU: 27
; NamedBarCnt: 0
; Occupancy: 16
; WaveLimiterHint : 1
; COMPUTE_PGM_RSRC2:SCRATCH_EN: 0
; COMPUTE_PGM_RSRC2:USER_SGPR: 2
; COMPUTE_PGM_RSRC2:TRAP_HANDLER: 0
; COMPUTE_PGM_RSRC2:TGID_X_EN: 1
; COMPUTE_PGM_RSRC2:TGID_Y_EN: 1
; COMPUTE_PGM_RSRC2:TGID_Z_EN: 1
; COMPUTE_PGM_RSRC2:TIDIG_COMP_CNT: 1
	.section	.text._ZL19rocblas_spr2_kernelILi128ELi8ELi1E24rocblas_internal_val_ptrIdEPKdPdEvbbiT2_T3_lllS6_lllT4_lli,"axG",@progbits,_ZL19rocblas_spr2_kernelILi128ELi8ELi1E24rocblas_internal_val_ptrIdEPKdPdEvbbiT2_T3_lllS6_lllT4_lli,comdat
	.globl	_ZL19rocblas_spr2_kernelILi128ELi8ELi1E24rocblas_internal_val_ptrIdEPKdPdEvbbiT2_T3_lllS6_lllT4_lli ; -- Begin function _ZL19rocblas_spr2_kernelILi128ELi8ELi1E24rocblas_internal_val_ptrIdEPKdPdEvbbiT2_T3_lllS6_lllT4_lli
	.p2align	8
	.type	_ZL19rocblas_spr2_kernelILi128ELi8ELi1E24rocblas_internal_val_ptrIdEPKdPdEvbbiT2_T3_lllS6_lllT4_lli,@function
_ZL19rocblas_spr2_kernelILi128ELi8ELi1E24rocblas_internal_val_ptrIdEPKdPdEvbbiT2_T3_lllS6_lllT4_lli: ; @_ZL19rocblas_spr2_kernelILi128ELi8ELi1E24rocblas_internal_val_ptrIdEPKdPdEvbbiT2_T3_lllS6_lllT4_lli
; %bb.0:
	s_clause 0x1
	s_load_b32 s2, s[0:1], 0x0
	s_load_b512 s[4:19], s[0:1], 0x8
	s_wait_kmcnt 0x0
	s_bitcmp1_b32 s2, 0
	v_mov_b64_e32 v[2:3], s[4:5]
	s_cselect_b32 s2, -1, 0
	s_delay_alu instid0(SALU_CYCLE_1)
	s_and_b32 vcc_lo, exec_lo, s2
	s_cbranch_vccnz .LBB1_2
; %bb.1:
	v_mov_b32_e32 v1, 0
	flat_load_b64 v[2:3], v1, s[4:5]
.LBB1_2:
	s_mov_b32 s2, exec_lo
	s_wait_loadcnt_dscnt 0x0
	s_delay_alu instid0(VALU_DEP_1)
	v_cmpx_neq_f64_e32 0, v[2:3]
	s_cbranch_execz .LBB1_12
; %bb.3:
	s_load_b32 s28, s[0:1], 0x68
	s_bfe_u32 s2, ttmp6, 0x40014
	s_lshr_b32 s3, ttmp7, 16
	s_add_co_i32 s2, s2, 1
	s_bfe_u32 s4, ttmp6, 0x40008
	s_mul_i32 s2, s3, s2
	s_getreg_b32 s29, hwreg(HW_REG_IB_STS2, 6, 4)
	s_add_co_i32 s4, s4, s2
	s_cmp_eq_u32 s29, 0
	s_mov_b32 s5, 0
	s_cselect_b32 s4, s3, s4
	s_wait_kmcnt 0x0
	s_cmp_ge_u32 s4, s28
	s_cbranch_scc1 .LBB1_12
; %bb.4:
	s_clause 0x1
	s_load_b64 s[2:3], s[0:1], 0x0
	s_load_b256 s[20:27], s[0:1], 0x48
	s_lshl_b64 s[8:9], s[8:9], 3
	s_lshl_b64 s[30:31], s[16:17], 3
	v_bfe_u32 v1, v0, 10, 10
	v_and_b32_e32 v0, 0x3ff, v0
	s_add_nc_u64 s[6:7], s[6:7], s[8:9]
	s_add_nc_u64 s[8:9], s[14:15], s[30:31]
	s_wait_kmcnt 0x0
	s_bitcmp1_b32 s2, 8
	s_cselect_b32 vcc_lo, -1, 0
	s_bfe_u32 s17, ttmp6, 0x40010
	s_bfe_u32 s33, ttmp6, 0x4000c
	s_and_b32 s2, ttmp7, 0xffff
	s_add_co_i32 s17, s17, 1
	s_add_co_i32 s33, s33, 1
	s_lshl_b64 s[0:1], s[24:25], 3
	s_bfe_u32 s24, ttmp6, 0x40004
	s_and_b32 s25, ttmp6, 15
	s_mul_i32 s17, s2, s17
	s_mul_i32 s33, ttmp9, s33
	s_xor_b32 s16, vcc_lo, -1
	s_add_co_i32 s24, s24, s17
	s_add_co_i32 s25, s25, s33
	s_cmp_eq_u32 s29, 0
	s_cselect_b32 s2, s2, s24
	s_delay_alu instid0(SALU_CYCLE_1) | instskip(SKIP_3) | instid1(VALU_DEP_2)
	v_lshl_add_u32 v10, s2, 3, v1
	s_cselect_b32 s2, ttmp9, s25
	s_lshl_b32 s17, s3, 1
	v_lshl_add_u32 v12, s2, 7, v0
	v_dual_sub_nc_u32 v1, s17, v10 :: v_dual_ashrrev_i32 v11, 31, v10
	v_mad_u32 v15, v10, v10, v10
	s_delay_alu instid0(VALU_DEP_3) | instskip(NEXT) | instid1(VALU_DEP_3)
	v_cmp_le_i32_e64 s2, v12, v10
	v_mad_u32 v14, v10, v1, v10
	v_ashrrev_i32_e32 v13, 31, v12
	v_mul_u64_e32 v[0:1], s[18:19], v[10:11]
	v_mul_u64_e32 v[4:5], s[10:11], v[10:11]
	s_delay_alu instid0(VALU_DEP_4) | instskip(NEXT) | instid1(VALU_DEP_4)
	v_dual_lshrrev_b32 v16, 31, v14 :: v_dual_lshrrev_b32 v17, 31, v15
	v_mul_u64_e32 v[6:7], s[10:11], v[12:13]
	v_mul_u64_e32 v[8:9], s[18:19], v[12:13]
	s_add_nc_u64 s[10:11], s[22:23], s[0:1]
	s_delay_alu instid0(VALU_DEP_3) | instskip(SKIP_3) | instid1(VALU_DEP_4)
	v_dual_add_nc_u32 v11, v14, v16 :: v_dual_add_nc_u32 v13, v15, v17
	v_sub_nc_u32_e32 v14, v12, v10
	v_cmp_ge_i32_e64 s0, v12, v10
	v_cmp_gt_i32_e64 s1, s3, v10
	v_dual_ashrrev_i32 v11, 1, v11 :: v_dual_ashrrev_i32 v13, 1, v13
	s_and_b32 s1, s2, s1
	s_delay_alu instid0(VALU_DEP_1) | instskip(NEXT) | instid1(VALU_DEP_1)
	v_dual_add_nc_u32 v11, v14, v11 :: v_dual_add_nc_u32 v13, v13, v12
	v_cndmask_b32_e32 v14, v11, v13, vcc_lo
	v_cmp_gt_i32_e32 vcc_lo, s3, v12
	s_delay_alu instid0(VALU_DEP_2) | instskip(SKIP_1) | instid1(VALU_DEP_1)
	v_ashrrev_i32_e32 v15, 31, v14
	s_and_b32 s0, s0, vcc_lo
	v_lshl_add_u64 v[10:11], v[14:15], 3, s[10:11]
	s_branch .LBB1_6
.LBB1_5:                                ;   in Loop: Header=BB1_6 Depth=1
	s_wait_xcnt 0x0
	s_or_b32 exec_lo, exec_lo, s2
	s_add_co_i32 s4, s4, 0x10000
	s_delay_alu instid0(SALU_CYCLE_1)
	s_cmp_lt_u32 s4, s28
	s_cbranch_scc0 .LBB1_12
.LBB1_6:                                ; =>This Inner Loop Header: Depth=1
	s_mov_b32 s3, 0
	s_and_b32 vcc_lo, exec_lo, s16
	s_mov_b32 s2, -1
	s_cbranch_vccnz .LBB1_9
; %bb.7:                                ;   in Loop: Header=BB1_6 Depth=1
	s_and_not1_b32 vcc_lo, exec_lo, s2
	s_cbranch_vccz .LBB1_10
.LBB1_8:                                ;   in Loop: Header=BB1_6 Depth=1
	s_and_saveexec_b32 s2, s3
	s_cbranch_execz .LBB1_5
	s_branch .LBB1_11
.LBB1_9:                                ;   in Loop: Header=BB1_6 Depth=1
	s_and_b32 s3, s0, exec_lo
	s_cbranch_execnz .LBB1_8
.LBB1_10:                               ;   in Loop: Header=BB1_6 Depth=1
	s_and_not1_b32 s2, s3, exec_lo
	s_and_b32 s3, s1, exec_lo
	s_delay_alu instid0(SALU_CYCLE_1) | instskip(NEXT) | instid1(SALU_CYCLE_1)
	s_or_b32 s3, s2, s3
	s_and_saveexec_b32 s2, s3
	s_cbranch_execz .LBB1_5
.LBB1_11:                               ;   in Loop: Header=BB1_6 Depth=1
	s_mul_u64 s[10:11], s[20:21], s[4:5]
	s_mul_u64 s[14:15], s[12:13], s[4:5]
	s_lshl_b64 s[10:11], s[10:11], 3
	s_lshl_b64 s[14:15], s[14:15], 3
	s_add_nc_u64 s[10:11], s[8:9], s[10:11]
	s_add_nc_u64 s[14:15], s[6:7], s[14:15]
	v_lshl_add_u64 v[12:13], v[8:9], 3, s[10:11]
	v_lshl_add_u64 v[14:15], v[6:7], 3, s[14:15]
	;; [unrolled: 1-line block ×3, first 2 shown]
	global_load_b64 v[12:13], v[12:13], off
	s_clause 0x1
	global_load_b64 v[18:19], v[14:15], off
	global_load_b64 v[20:21], v[16:17], off
	s_wait_xcnt 0x1
	v_lshl_add_u64 v[14:15], v[0:1], 3, s[10:11]
	s_mul_u64 s[10:11], s[26:27], s[4:5]
	s_wait_xcnt 0x0
	v_lshl_add_u64 v[16:17], s[10:11], 3, v[10:11]
	global_load_b64 v[14:15], v[14:15], off
	global_load_b64 v[22:23], v[16:17], off
	s_wait_loadcnt 0x3
	v_mul_f64_e32 v[18:19], v[2:3], v[18:19]
	v_mul_f64_e32 v[12:13], v[2:3], v[12:13]
	s_wait_loadcnt 0x2
	s_delay_alu instid0(VALU_DEP_1) | instskip(SKIP_1) | instid1(VALU_DEP_1)
	v_mul_f64_e32 v[12:13], v[12:13], v[20:21]
	s_wait_loadcnt 0x1
	v_fmac_f64_e32 v[12:13], v[18:19], v[14:15]
	s_wait_loadcnt 0x0
	s_delay_alu instid0(VALU_DEP_1)
	v_add_f64_e32 v[12:13], v[22:23], v[12:13]
	global_store_b64 v[16:17], v[12:13], off
	s_branch .LBB1_5
.LBB1_12:
	s_endpgm
	.section	.rodata,"a",@progbits
	.p2align	6, 0x0
	.amdhsa_kernel _ZL19rocblas_spr2_kernelILi128ELi8ELi1E24rocblas_internal_val_ptrIdEPKdPdEvbbiT2_T3_lllS6_lllT4_lli
		.amdhsa_group_segment_fixed_size 0
		.amdhsa_private_segment_fixed_size 0
		.amdhsa_kernarg_size 108
		.amdhsa_user_sgpr_count 2
		.amdhsa_user_sgpr_dispatch_ptr 0
		.amdhsa_user_sgpr_queue_ptr 0
		.amdhsa_user_sgpr_kernarg_segment_ptr 1
		.amdhsa_user_sgpr_dispatch_id 0
		.amdhsa_user_sgpr_kernarg_preload_length 0
		.amdhsa_user_sgpr_kernarg_preload_offset 0
		.amdhsa_user_sgpr_private_segment_size 0
		.amdhsa_wavefront_size32 1
		.amdhsa_uses_dynamic_stack 0
		.amdhsa_enable_private_segment 0
		.amdhsa_system_sgpr_workgroup_id_x 1
		.amdhsa_system_sgpr_workgroup_id_y 1
		.amdhsa_system_sgpr_workgroup_id_z 1
		.amdhsa_system_sgpr_workgroup_info 0
		.amdhsa_system_vgpr_workitem_id 1
		.amdhsa_next_free_vgpr 24
		.amdhsa_next_free_sgpr 34
		.amdhsa_named_barrier_count 0
		.amdhsa_reserve_vcc 1
		.amdhsa_float_round_mode_32 0
		.amdhsa_float_round_mode_16_64 0
		.amdhsa_float_denorm_mode_32 3
		.amdhsa_float_denorm_mode_16_64 3
		.amdhsa_fp16_overflow 0
		.amdhsa_memory_ordered 1
		.amdhsa_forward_progress 1
		.amdhsa_inst_pref_size 7
		.amdhsa_round_robin_scheduling 0
		.amdhsa_exception_fp_ieee_invalid_op 0
		.amdhsa_exception_fp_denorm_src 0
		.amdhsa_exception_fp_ieee_div_zero 0
		.amdhsa_exception_fp_ieee_overflow 0
		.amdhsa_exception_fp_ieee_underflow 0
		.amdhsa_exception_fp_ieee_inexact 0
		.amdhsa_exception_int_div_zero 0
	.end_amdhsa_kernel
	.section	.text._ZL19rocblas_spr2_kernelILi128ELi8ELi1E24rocblas_internal_val_ptrIdEPKdPdEvbbiT2_T3_lllS6_lllT4_lli,"axG",@progbits,_ZL19rocblas_spr2_kernelILi128ELi8ELi1E24rocblas_internal_val_ptrIdEPKdPdEvbbiT2_T3_lllS6_lllT4_lli,comdat
.Lfunc_end1:
	.size	_ZL19rocblas_spr2_kernelILi128ELi8ELi1E24rocblas_internal_val_ptrIdEPKdPdEvbbiT2_T3_lllS6_lllT4_lli, .Lfunc_end1-_ZL19rocblas_spr2_kernelILi128ELi8ELi1E24rocblas_internal_val_ptrIdEPKdPdEvbbiT2_T3_lllS6_lllT4_lli
                                        ; -- End function
	.set _ZL19rocblas_spr2_kernelILi128ELi8ELi1E24rocblas_internal_val_ptrIdEPKdPdEvbbiT2_T3_lllS6_lllT4_lli.num_vgpr, 24
	.set _ZL19rocblas_spr2_kernelILi128ELi8ELi1E24rocblas_internal_val_ptrIdEPKdPdEvbbiT2_T3_lllS6_lllT4_lli.num_agpr, 0
	.set _ZL19rocblas_spr2_kernelILi128ELi8ELi1E24rocblas_internal_val_ptrIdEPKdPdEvbbiT2_T3_lllS6_lllT4_lli.numbered_sgpr, 34
	.set _ZL19rocblas_spr2_kernelILi128ELi8ELi1E24rocblas_internal_val_ptrIdEPKdPdEvbbiT2_T3_lllS6_lllT4_lli.num_named_barrier, 0
	.set _ZL19rocblas_spr2_kernelILi128ELi8ELi1E24rocblas_internal_val_ptrIdEPKdPdEvbbiT2_T3_lllS6_lllT4_lli.private_seg_size, 0
	.set _ZL19rocblas_spr2_kernelILi128ELi8ELi1E24rocblas_internal_val_ptrIdEPKdPdEvbbiT2_T3_lllS6_lllT4_lli.uses_vcc, 1
	.set _ZL19rocblas_spr2_kernelILi128ELi8ELi1E24rocblas_internal_val_ptrIdEPKdPdEvbbiT2_T3_lllS6_lllT4_lli.uses_flat_scratch, 0
	.set _ZL19rocblas_spr2_kernelILi128ELi8ELi1E24rocblas_internal_val_ptrIdEPKdPdEvbbiT2_T3_lllS6_lllT4_lli.has_dyn_sized_stack, 0
	.set _ZL19rocblas_spr2_kernelILi128ELi8ELi1E24rocblas_internal_val_ptrIdEPKdPdEvbbiT2_T3_lllS6_lllT4_lli.has_recursion, 0
	.set _ZL19rocblas_spr2_kernelILi128ELi8ELi1E24rocblas_internal_val_ptrIdEPKdPdEvbbiT2_T3_lllS6_lllT4_lli.has_indirect_call, 0
	.section	.AMDGPU.csdata,"",@progbits
; Kernel info:
; codeLenInByte = 800
; TotalNumSgprs: 36
; NumVgprs: 24
; ScratchSize: 0
; MemoryBound: 0
; FloatMode: 240
; IeeeMode: 1
; LDSByteSize: 0 bytes/workgroup (compile time only)
; SGPRBlocks: 0
; VGPRBlocks: 1
; NumSGPRsForWavesPerEU: 36
; NumVGPRsForWavesPerEU: 24
; NamedBarCnt: 0
; Occupancy: 16
; WaveLimiterHint : 1
; COMPUTE_PGM_RSRC2:SCRATCH_EN: 0
; COMPUTE_PGM_RSRC2:USER_SGPR: 2
; COMPUTE_PGM_RSRC2:TRAP_HANDLER: 0
; COMPUTE_PGM_RSRC2:TGID_X_EN: 1
; COMPUTE_PGM_RSRC2:TGID_Y_EN: 1
; COMPUTE_PGM_RSRC2:TGID_Z_EN: 1
; COMPUTE_PGM_RSRC2:TIDIG_COMP_CNT: 1
	.section	.text._ZL19rocblas_spr2_kernelILi128ELi8ELi2E24rocblas_internal_val_ptrIfEPKPKfPKPfEvbbiT2_T3_lllSA_lllT4_lli,"axG",@progbits,_ZL19rocblas_spr2_kernelILi128ELi8ELi2E24rocblas_internal_val_ptrIfEPKPKfPKPfEvbbiT2_T3_lllSA_lllT4_lli,comdat
	.globl	_ZL19rocblas_spr2_kernelILi128ELi8ELi2E24rocblas_internal_val_ptrIfEPKPKfPKPfEvbbiT2_T3_lllSA_lllT4_lli ; -- Begin function _ZL19rocblas_spr2_kernelILi128ELi8ELi2E24rocblas_internal_val_ptrIfEPKPKfPKPfEvbbiT2_T3_lllSA_lllT4_lli
	.p2align	8
	.type	_ZL19rocblas_spr2_kernelILi128ELi8ELi2E24rocblas_internal_val_ptrIfEPKPKfPKPfEvbbiT2_T3_lllSA_lllT4_lli,@function
_ZL19rocblas_spr2_kernelILi128ELi8ELi2E24rocblas_internal_val_ptrIfEPKPKfPKPfEvbbiT2_T3_lllSA_lllT4_lli: ; @_ZL19rocblas_spr2_kernelILi128ELi8ELi2E24rocblas_internal_val_ptrIfEPKPKfPKPfEvbbiT2_T3_lllSA_lllT4_lli
; %bb.0:
	s_clause 0x1
	s_load_b32 s2, s[0:1], 0x0
	s_load_b256 s[8:15], s[0:1], 0x8
	s_wait_kmcnt 0x0
	s_bitcmp0_b32 s2, 0
	s_mov_b32 s2, 0
	s_cbranch_scc0 .LBB2_2
; %bb.1:
	s_load_b32 s24, s[8:9], 0x0
	s_and_not1_b32 vcc_lo, exec_lo, s2
	s_cbranch_vccz .LBB2_3
	s_branch .LBB2_4
.LBB2_2:
                                        ; implicit-def: $sgpr24
.LBB2_3:
	s_wait_kmcnt 0x0
	s_mov_b32 s24, s8
.LBB2_4:
	s_wait_kmcnt 0x0
	s_cmp_eq_f32 s24, 0
	s_cbranch_scc1 .LBB2_20
; %bb.5:
	s_load_b32 s26, s[0:1], 0x68
	s_bfe_u32 s2, ttmp6, 0x40014
	s_lshr_b32 s3, ttmp7, 16
	s_add_co_i32 s2, s2, 1
	s_bfe_u32 s5, ttmp6, 0x40008
	s_mul_i32 s4, s3, s2
	s_getreg_b32 s2, hwreg(HW_REG_IB_STS2, 6, 4)
	s_add_co_i32 s5, s5, s4
	s_cmp_eq_u32 s2, 0
	s_cselect_b32 s27, s3, s5
	s_wait_kmcnt 0x0
	s_cmp_ge_u32 s27, s26
	s_cbranch_scc1 .LBB2_20
; %bb.6:
	s_clause 0x2
	s_load_b64 s[4:5], s[0:1], 0x0
	s_load_b128 s[16:19], s[0:1], 0x30
	s_load_b64 s[6:7], s[0:1], 0x40
	v_bfe_u32 v1, v0, 10, 10
	v_and_b32_e32 v0, 0x3ff, v0
	s_mov_b32 s25, s24
	s_wait_kmcnt 0x0
	s_bitcmp1_b32 s4, 8
	s_cselect_b32 vcc_lo, -1, 0
	s_bfe_u32 s4, ttmp6, 0x40010
	s_bfe_u32 s20, ttmp6, 0x4000c
	s_and_b32 s3, ttmp7, 0xffff
	s_add_co_i32 s4, s4, 1
	s_add_co_i32 s20, s20, 1
	s_bfe_u32 s8, ttmp6, 0x40004
	s_and_b32 s9, ttmp6, 15
	s_mul_i32 s4, s3, s4
	s_mul_i32 s20, ttmp9, s20
	s_xor_b32 s28, vcc_lo, -1
	s_add_co_i32 s8, s8, s4
	s_add_co_i32 s9, s9, s20
	s_cmp_eq_u32 s2, 0
	s_load_b128 s[20:23], s[0:1], 0x50
	s_cselect_b32 s2, s3, s8
	s_delay_alu instid0(SALU_CYCLE_1) | instskip(SKIP_3) | instid1(VALU_DEP_2)
	v_lshl_add_u32 v12, s2, 3, v1
	s_cselect_b32 s2, ttmp9, s9
	s_lshl_b32 s3, s5, 1
	v_lshl_add_u32 v14, s2, 8, v0
	v_dual_sub_nc_u32 v0, s3, v12 :: v_dual_ashrrev_i32 v13, 31, v12
	v_mad_u32 v18, v12, v12, v12
	s_delay_alu instid0(VALU_DEP_3) | instskip(SKIP_1) | instid1(VALU_DEP_4)
	v_add_nc_u32_e32 v16, 0x80, v14
	v_ashrrev_i32_e32 v15, 31, v14
	v_mad_u32 v19, v12, v0, v12
	v_mul_u64_e32 v[0:1], s[6:7], v[12:13]
	v_mul_u64_e32 v[2:3], s[14:15], v[12:13]
	v_ashrrev_i32_e32 v17, 31, v16
	v_mul_u64_e32 v[4:5], s[14:15], v[14:15]
	v_mul_u64_e32 v[6:7], s[6:7], v[14:15]
	s_wait_xcnt 0x0
	v_cmp_gt_i32_e64 s0, s5, v12
	v_cmp_gt_i32_e64 s1, s5, v14
	v_mul_u64_e32 v[8:9], s[14:15], v[16:17]
	v_mul_u64_e32 v[10:11], s[6:7], v[16:17]
	v_dual_lshrrev_b32 v13, 31, v18 :: v_dual_lshrrev_b32 v15, 31, v19
	v_cmp_ge_i32_e64 s2, v14, v12
	v_cmp_le_i32_e64 s3, v14, v12
	v_cmp_gt_i32_e64 s4, s5, v16
	s_delay_alu instid0(VALU_DEP_4) | instskip(SKIP_3) | instid1(VALU_DEP_4)
	v_dual_add_nc_u32 v13, v18, v13 :: v_dual_add_nc_u32 v15, v19, v15
	v_sub_nc_u32_e32 v17, v14, v12
	v_cmp_le_i32_e64 s5, v12, v16
	v_cmp_le_i32_e64 s6, v16, v12
	v_dual_ashrrev_i32 v13, 1, v13 :: v_dual_ashrrev_i32 v15, 1, v15
	s_and_b32 s14, s2, s1
	s_and_b32 s15, s3, s0
	;; [unrolled: 1-line block ×3, first 2 shown]
	s_delay_alu instid0(VALU_DEP_1)
	v_add_nc_u32_e32 v13, v13, v14
	v_add_nc_u32_e32 v15, v17, v15
	s_and_b32 s30, s0, s6
	s_wait_kmcnt 0x0
	s_lshl_b64 s[0:1], s[22:23], 2
	s_lshl_b64 s[2:3], s[12:13], 2
	;; [unrolled: 1-line block ×3, first 2 shown]
	v_cndmask_b32_e32 v12, v15, v13, vcc_lo
	s_delay_alu instid0(VALU_DEP_1)
	v_ashrrev_i32_e32 v13, 31, v12
	s_branch .LBB2_8
.LBB2_7:                                ;   in Loop: Header=BB2_8 Depth=1
	s_wait_xcnt 0x0
	s_or_b32 exec_lo, exec_lo, s18
	s_add_co_i32 s27, s27, 0x10000
	s_delay_alu instid0(SALU_CYCLE_1)
	s_cmp_lt_u32 s27, s26
	s_cbranch_scc0 .LBB2_20
.LBB2_8:                                ; =>This Inner Loop Header: Depth=1
	s_and_b32 vcc_lo, exec_lo, s28
	s_mov_b32 s18, 0
	s_mov_b32 s6, -1
	s_cbranch_vccz .LBB2_10
; %bb.9:                                ;   in Loop: Header=BB2_8 Depth=1
	s_mov_b32 s6, 0
	s_and_b32 s18, s14, exec_lo
.LBB2_10:                               ;   in Loop: Header=BB2_8 Depth=1
	s_and_not1_b32 vcc_lo, exec_lo, s6
	s_cbranch_vccnz .LBB2_12
; %bb.11:                               ;   in Loop: Header=BB2_8 Depth=1
	s_and_not1_b32 s6, s18, exec_lo
	s_and_b32 s7, s15, exec_lo
	s_delay_alu instid0(SALU_CYCLE_1)
	s_or_b32 s18, s6, s7
.LBB2_12:                               ;   in Loop: Header=BB2_8 Depth=1
	s_load_b64 s[6:7], s[16:17], s27 offset:0x0 scale_offset
	s_load_b64 s[12:13], s[10:11], s27 offset:0x0 scale_offset
	;; [unrolled: 1-line block ×3, first 2 shown]
	s_wait_kmcnt 0x0
	s_add_nc_u64 s[8:9], s[6:7], s[4:5]
	s_add_nc_u64 s[12:13], s[12:13], s[2:3]
	v_lshl_add_u64 v[14:15], v[0:1], 2, s[8:9]
	v_lshl_add_u64 v[16:17], v[2:3], 2, s[12:13]
	s_add_nc_u64 s[6:7], s[22:23], s[0:1]
	s_and_saveexec_b32 s19, s18
	s_cbranch_execz .LBB2_14
; %bb.13:                               ;   in Loop: Header=BB2_8 Depth=1
	v_lshl_add_u64 v[18:19], v[4:5], 2, s[12:13]
	v_lshl_add_u64 v[20:21], v[6:7], 2, s[8:9]
	flat_load_b32 v22, v[18:19]
	s_clause 0x1
	flat_load_b32 v23, v[20:21]
	flat_load_b32 v24, v[14:15]
	;; [unrolled: 1-line block ×3, first 2 shown]
	s_wait_xcnt 0x3
	v_lshl_add_u64 v[18:19], v[12:13], 2, s[6:7]
	s_wait_xcnt 0x2
	v_mov_b64_e32 v[20:21], s[24:25]
	flat_load_b32 v26, v[18:19]
	s_wait_loadcnt_dscnt 0x303
	v_pk_mul_f32 v[20:21], v[20:21], v[22:23]
	s_wait_loadcnt_dscnt 0x101
	s_delay_alu instid0(VALU_DEP_1) | instskip(NEXT) | instid1(VALU_DEP_1)
	v_pk_mul_f32 v[20:21], v[20:21], v[24:25]
	v_add_f32_e32 v20, v20, v21
	s_wait_loadcnt_dscnt 0x0
	s_delay_alu instid0(VALU_DEP_1)
	v_add_f32_e32 v20, v26, v20
	flat_store_b32 v[18:19], v20
.LBB2_14:                               ;   in Loop: Header=BB2_8 Depth=1
	s_wait_xcnt 0x0
	s_or_b32 exec_lo, exec_lo, s19
	s_delay_alu instid0(SALU_CYCLE_1)
	s_and_not1_b32 vcc_lo, exec_lo, s28
	s_cbranch_vccnz .LBB2_19
; %bb.15:                               ;   in Loop: Header=BB2_8 Depth=1
	s_and_b32 s19, s29, exec_lo
	s_cbranch_execnz .LBB2_17
.LBB2_16:                               ;   in Loop: Header=BB2_8 Depth=1
	s_and_not1_b32 s18, s19, exec_lo
	s_and_b32 s19, s30, exec_lo
	s_delay_alu instid0(SALU_CYCLE_1)
	s_or_b32 s19, s18, s19
.LBB2_17:                               ;   in Loop: Header=BB2_8 Depth=1
	s_delay_alu instid0(SALU_CYCLE_1)
	s_and_saveexec_b32 s18, s19
	s_cbranch_execz .LBB2_7
; %bb.18:                               ;   in Loop: Header=BB2_8 Depth=1
	v_lshl_add_u64 v[18:19], v[8:9], 2, s[12:13]
	v_lshl_add_u64 v[20:21], v[10:11], 2, s[8:9]
	flat_load_b32 v22, v[18:19]
	s_clause 0x1
	flat_load_b32 v23, v[20:21]
	flat_load_b32 v24, v[14:15]
	;; [unrolled: 1-line block ×3, first 2 shown]
	s_wait_xcnt 0x1
	v_lshl_add_u64 v[14:15], v[12:13], 2, s[6:7]
	s_wait_xcnt 0x0
	v_mov_b64_e32 v[16:17], s[24:25]
	flat_load_b32 v18, v[14:15] offset:512
	s_wait_loadcnt_dscnt 0x303
	v_pk_mul_f32 v[16:17], v[16:17], v[22:23]
	s_wait_loadcnt_dscnt 0x101
	s_delay_alu instid0(VALU_DEP_1) | instskip(NEXT) | instid1(VALU_DEP_1)
	v_pk_mul_f32 v[16:17], v[16:17], v[24:25]
	v_add_f32_e32 v16, v16, v17
	s_wait_loadcnt_dscnt 0x0
	s_delay_alu instid0(VALU_DEP_1)
	v_add_f32_e32 v16, v18, v16
	flat_store_b32 v[14:15], v16 offset:512
	s_branch .LBB2_7
.LBB2_19:                               ;   in Loop: Header=BB2_8 Depth=1
	s_mov_b32 s19, 0
	s_branch .LBB2_16
.LBB2_20:
	s_endpgm
	.section	.rodata,"a",@progbits
	.p2align	6, 0x0
	.amdhsa_kernel _ZL19rocblas_spr2_kernelILi128ELi8ELi2E24rocblas_internal_val_ptrIfEPKPKfPKPfEvbbiT2_T3_lllSA_lllT4_lli
		.amdhsa_group_segment_fixed_size 0
		.amdhsa_private_segment_fixed_size 0
		.amdhsa_kernarg_size 108
		.amdhsa_user_sgpr_count 2
		.amdhsa_user_sgpr_dispatch_ptr 0
		.amdhsa_user_sgpr_queue_ptr 0
		.amdhsa_user_sgpr_kernarg_segment_ptr 1
		.amdhsa_user_sgpr_dispatch_id 0
		.amdhsa_user_sgpr_kernarg_preload_length 0
		.amdhsa_user_sgpr_kernarg_preload_offset 0
		.amdhsa_user_sgpr_private_segment_size 0
		.amdhsa_wavefront_size32 1
		.amdhsa_uses_dynamic_stack 0
		.amdhsa_enable_private_segment 0
		.amdhsa_system_sgpr_workgroup_id_x 1
		.amdhsa_system_sgpr_workgroup_id_y 1
		.amdhsa_system_sgpr_workgroup_id_z 1
		.amdhsa_system_sgpr_workgroup_info 0
		.amdhsa_system_vgpr_workitem_id 1
		.amdhsa_next_free_vgpr 27
		.amdhsa_next_free_sgpr 31
		.amdhsa_named_barrier_count 0
		.amdhsa_reserve_vcc 1
		.amdhsa_float_round_mode_32 0
		.amdhsa_float_round_mode_16_64 0
		.amdhsa_float_denorm_mode_32 3
		.amdhsa_float_denorm_mode_16_64 3
		.amdhsa_fp16_overflow 0
		.amdhsa_memory_ordered 1
		.amdhsa_forward_progress 1
		.amdhsa_inst_pref_size 9
		.amdhsa_round_robin_scheduling 0
		.amdhsa_exception_fp_ieee_invalid_op 0
		.amdhsa_exception_fp_denorm_src 0
		.amdhsa_exception_fp_ieee_div_zero 0
		.amdhsa_exception_fp_ieee_overflow 0
		.amdhsa_exception_fp_ieee_underflow 0
		.amdhsa_exception_fp_ieee_inexact 0
		.amdhsa_exception_int_div_zero 0
	.end_amdhsa_kernel
	.section	.text._ZL19rocblas_spr2_kernelILi128ELi8ELi2E24rocblas_internal_val_ptrIfEPKPKfPKPfEvbbiT2_T3_lllSA_lllT4_lli,"axG",@progbits,_ZL19rocblas_spr2_kernelILi128ELi8ELi2E24rocblas_internal_val_ptrIfEPKPKfPKPfEvbbiT2_T3_lllSA_lllT4_lli,comdat
.Lfunc_end2:
	.size	_ZL19rocblas_spr2_kernelILi128ELi8ELi2E24rocblas_internal_val_ptrIfEPKPKfPKPfEvbbiT2_T3_lllSA_lllT4_lli, .Lfunc_end2-_ZL19rocblas_spr2_kernelILi128ELi8ELi2E24rocblas_internal_val_ptrIfEPKPKfPKPfEvbbiT2_T3_lllSA_lllT4_lli
                                        ; -- End function
	.set _ZL19rocblas_spr2_kernelILi128ELi8ELi2E24rocblas_internal_val_ptrIfEPKPKfPKPfEvbbiT2_T3_lllSA_lllT4_lli.num_vgpr, 27
	.set _ZL19rocblas_spr2_kernelILi128ELi8ELi2E24rocblas_internal_val_ptrIfEPKPKfPKPfEvbbiT2_T3_lllSA_lllT4_lli.num_agpr, 0
	.set _ZL19rocblas_spr2_kernelILi128ELi8ELi2E24rocblas_internal_val_ptrIfEPKPKfPKPfEvbbiT2_T3_lllSA_lllT4_lli.numbered_sgpr, 31
	.set _ZL19rocblas_spr2_kernelILi128ELi8ELi2E24rocblas_internal_val_ptrIfEPKPKfPKPfEvbbiT2_T3_lllSA_lllT4_lli.num_named_barrier, 0
	.set _ZL19rocblas_spr2_kernelILi128ELi8ELi2E24rocblas_internal_val_ptrIfEPKPKfPKPfEvbbiT2_T3_lllSA_lllT4_lli.private_seg_size, 0
	.set _ZL19rocblas_spr2_kernelILi128ELi8ELi2E24rocblas_internal_val_ptrIfEPKPKfPKPfEvbbiT2_T3_lllSA_lllT4_lli.uses_vcc, 1
	.set _ZL19rocblas_spr2_kernelILi128ELi8ELi2E24rocblas_internal_val_ptrIfEPKPKfPKPfEvbbiT2_T3_lllSA_lllT4_lli.uses_flat_scratch, 1
	.set _ZL19rocblas_spr2_kernelILi128ELi8ELi2E24rocblas_internal_val_ptrIfEPKPKfPKPfEvbbiT2_T3_lllSA_lllT4_lli.has_dyn_sized_stack, 0
	.set _ZL19rocblas_spr2_kernelILi128ELi8ELi2E24rocblas_internal_val_ptrIfEPKPKfPKPfEvbbiT2_T3_lllSA_lllT4_lli.has_recursion, 0
	.set _ZL19rocblas_spr2_kernelILi128ELi8ELi2E24rocblas_internal_val_ptrIfEPKPKfPKPfEvbbiT2_T3_lllSA_lllT4_lli.has_indirect_call, 0
	.section	.AMDGPU.csdata,"",@progbits
; Kernel info:
; codeLenInByte = 1068
; TotalNumSgprs: 33
; NumVgprs: 27
; ScratchSize: 0
; MemoryBound: 0
; FloatMode: 240
; IeeeMode: 1
; LDSByteSize: 0 bytes/workgroup (compile time only)
; SGPRBlocks: 0
; VGPRBlocks: 1
; NumSGPRsForWavesPerEU: 33
; NumVGPRsForWavesPerEU: 27
; NamedBarCnt: 0
; Occupancy: 16
; WaveLimiterHint : 1
; COMPUTE_PGM_RSRC2:SCRATCH_EN: 0
; COMPUTE_PGM_RSRC2:USER_SGPR: 2
; COMPUTE_PGM_RSRC2:TRAP_HANDLER: 0
; COMPUTE_PGM_RSRC2:TGID_X_EN: 1
; COMPUTE_PGM_RSRC2:TGID_Y_EN: 1
; COMPUTE_PGM_RSRC2:TGID_Z_EN: 1
; COMPUTE_PGM_RSRC2:TIDIG_COMP_CNT: 1
	.section	.text._ZL19rocblas_spr2_kernelILi128ELi8ELi1E24rocblas_internal_val_ptrIdEPKPKdPKPdEvbbiT2_T3_lllSA_lllT4_lli,"axG",@progbits,_ZL19rocblas_spr2_kernelILi128ELi8ELi1E24rocblas_internal_val_ptrIdEPKPKdPKPdEvbbiT2_T3_lllSA_lllT4_lli,comdat
	.globl	_ZL19rocblas_spr2_kernelILi128ELi8ELi1E24rocblas_internal_val_ptrIdEPKPKdPKPdEvbbiT2_T3_lllSA_lllT4_lli ; -- Begin function _ZL19rocblas_spr2_kernelILi128ELi8ELi1E24rocblas_internal_val_ptrIdEPKPKdPKPdEvbbiT2_T3_lllSA_lllT4_lli
	.p2align	8
	.type	_ZL19rocblas_spr2_kernelILi128ELi8ELi1E24rocblas_internal_val_ptrIdEPKPKdPKPdEvbbiT2_T3_lllSA_lllT4_lli,@function
_ZL19rocblas_spr2_kernelILi128ELi8ELi1E24rocblas_internal_val_ptrIdEPKPKdPKPdEvbbiT2_T3_lllSA_lllT4_lli: ; @_ZL19rocblas_spr2_kernelILi128ELi8ELi1E24rocblas_internal_val_ptrIdEPKPKdPKPdEvbbiT2_T3_lllSA_lllT4_lli
; %bb.0:
	s_clause 0x1
	s_load_b32 s2, s[0:1], 0x0
	s_load_b256 s[4:11], s[0:1], 0x8
	s_wait_kmcnt 0x0
	s_bitcmp1_b32 s2, 0
	v_mov_b64_e32 v[2:3], s[4:5]
	s_cselect_b32 s2, -1, 0
	s_delay_alu instid0(SALU_CYCLE_1)
	s_and_b32 vcc_lo, exec_lo, s2
	s_cbranch_vccnz .LBB3_2
; %bb.1:
	v_mov_b32_e32 v1, 0
	flat_load_b64 v[2:3], v1, s[4:5]
.LBB3_2:
	s_mov_b32 s2, exec_lo
	s_wait_loadcnt_dscnt 0x0
	s_delay_alu instid0(VALU_DEP_1)
	v_cmpx_neq_f64_e32 0, v[2:3]
	s_cbranch_execz .LBB3_12
; %bb.3:
	s_load_b32 s20, s[0:1], 0x68
	s_bfe_u32 s2, ttmp6, 0x40014
	s_lshr_b32 s3, ttmp7, 16
	s_add_co_i32 s2, s2, 1
	s_bfe_u32 s5, ttmp6, 0x40008
	s_mul_i32 s4, s3, s2
	s_getreg_b32 s2, hwreg(HW_REG_IB_STS2, 6, 4)
	s_add_co_i32 s5, s5, s4
	s_cmp_eq_u32 s2, 0
	s_cselect_b32 s21, s3, s5
	s_wait_kmcnt 0x0
	s_cmp_ge_u32 s21, s20
	s_cbranch_scc1 .LBB3_12
; %bb.4:
	s_clause 0x1
	s_load_b64 s[4:5], s[0:1], 0x0
	s_load_b128 s[12:15], s[0:1], 0x30
	v_bfe_u32 v1, v0, 10, 10
	v_and_b32_e32 v0, 0x3ff, v0
	s_wait_kmcnt 0x0
	s_bitcmp1_b32 s4, 8
	s_cselect_b32 vcc_lo, -1, 0
	s_bfe_u32 s3, ttmp6, 0x40010
	s_bfe_u32 s18, ttmp6, 0x4000c
	s_and_b32 s4, ttmp7, 0xffff
	s_add_co_i32 s3, s3, 1
	s_add_co_i32 s18, s18, 1
	s_bfe_u32 s16, ttmp6, 0x40004
	s_and_b32 s17, ttmp6, 15
	s_mul_i32 s3, s4, s3
	s_mul_i32 s18, ttmp9, s18
	s_xor_b32 s22, vcc_lo, -1
	s_add_co_i32 s16, s16, s3
	s_add_co_i32 s17, s17, s18
	s_cmp_eq_u32 s2, 0
	s_load_b64 s[2:3], s[0:1], 0x40
	s_cselect_b32 s4, s4, s16
	s_delay_alu instid0(SALU_CYCLE_1) | instskip(SKIP_3) | instid1(VALU_DEP_2)
	v_lshl_add_u32 v10, s4, 3, v1
	s_cselect_b32 s4, ttmp9, s17
	s_lshl_b32 s16, s5, 1
	v_lshl_add_u32 v12, s4, 7, v0
	v_dual_sub_nc_u32 v1, s16, v10 :: v_dual_ashrrev_i32 v11, 31, v10
	v_mad_u32 v15, v10, v10, v10
	s_load_b128 s[16:19], s[0:1], 0x50
	s_wait_xcnt 0x0
	v_cmp_ge_i32_e64 s1, v12, v10
	v_mad_u32 v14, v10, v1, v10
	v_ashrrev_i32_e32 v13, 31, v12
	v_mul_u64_e32 v[4:5], s[10:11], v[10:11]
	v_cmp_gt_i32_e64 s0, s5, v12
	s_wait_kmcnt 0x0
	v_mul_u64_e32 v[0:1], s[2:3], v[10:11]
	v_lshrrev_b32_e32 v11, 31, v14
	v_mul_u64_e32 v[6:7], s[10:11], v[12:13]
	v_mul_u64_e32 v[8:9], s[2:3], v[12:13]
	v_lshrrev_b32_e32 v13, 31, v15
	v_cmp_gt_i32_e64 s2, s5, v10
	v_dual_add_nc_u32 v11, v14, v11 :: v_dual_sub_nc_u32 v14, v12, v10
	v_cmp_le_i32_e64 s3, v12, v10
	s_delay_alu instid0(VALU_DEP_4)
	v_add_nc_u32_e32 v13, v15, v13
	s_and_b32 s10, s1, s0
	v_ashrrev_i32_e32 v11, 1, v11
	s_lshl_b64 s[0:1], s[18:19], 3
	s_and_b32 s11, s3, s2
	v_ashrrev_i32_e32 v13, 1, v13
	s_lshl_b64 s[2:3], s[8:9], 3
	v_add_nc_u32_e32 v11, v14, v11
	s_lshl_b64 s[4:5], s[14:15], 3
	s_delay_alu instid0(VALU_DEP_2) | instskip(NEXT) | instid1(VALU_DEP_1)
	v_add_nc_u32_e32 v13, v13, v12
	v_cndmask_b32_e32 v10, v11, v13, vcc_lo
	s_delay_alu instid0(VALU_DEP_1)
	v_ashrrev_i32_e32 v11, 31, v10
	s_branch .LBB3_6
.LBB3_5:                                ;   in Loop: Header=BB3_6 Depth=1
	s_wait_xcnt 0x0
	s_or_b32 exec_lo, exec_lo, s8
	s_add_co_i32 s21, s21, 0x10000
	s_delay_alu instid0(SALU_CYCLE_1)
	s_cmp_lt_u32 s21, s20
	s_cbranch_scc0 .LBB3_12
.LBB3_6:                                ; =>This Inner Loop Header: Depth=1
	s_mov_b32 s9, 0
	s_and_b32 vcc_lo, exec_lo, s22
	s_mov_b32 s8, -1
	s_cbranch_vccnz .LBB3_9
; %bb.7:                                ;   in Loop: Header=BB3_6 Depth=1
	s_and_not1_b32 vcc_lo, exec_lo, s8
	s_cbranch_vccz .LBB3_10
.LBB3_8:                                ;   in Loop: Header=BB3_6 Depth=1
	s_and_saveexec_b32 s8, s9
	s_cbranch_execz .LBB3_5
	s_branch .LBB3_11
.LBB3_9:                                ;   in Loop: Header=BB3_6 Depth=1
	s_and_b32 s9, s10, exec_lo
	s_cbranch_execnz .LBB3_8
.LBB3_10:                               ;   in Loop: Header=BB3_6 Depth=1
	s_and_not1_b32 s8, s9, exec_lo
	s_and_b32 s9, s11, exec_lo
	s_delay_alu instid0(SALU_CYCLE_1) | instskip(NEXT) | instid1(SALU_CYCLE_1)
	s_or_b32 s9, s8, s9
	s_and_saveexec_b32 s8, s9
	s_cbranch_execz .LBB3_5
.LBB3_11:                               ;   in Loop: Header=BB3_6 Depth=1
	s_load_b64 s[14:15], s[12:13], s21 offset:0x0 scale_offset
	s_load_b64 s[18:19], s[6:7], s21 offset:0x0 scale_offset
	s_wait_kmcnt 0x0
	s_add_nc_u64 s[14:15], s[14:15], s[4:5]
	s_add_nc_u64 s[18:19], s[18:19], s[2:3]
	v_lshl_add_u64 v[12:13], v[8:9], 3, s[14:15]
	v_lshl_add_u64 v[14:15], v[6:7], 3, s[18:19]
	;; [unrolled: 1-line block ×3, first 2 shown]
	flat_load_b64 v[12:13], v[12:13]
	s_clause 0x1
	flat_load_b64 v[18:19], v[14:15]
	flat_load_b64 v[20:21], v[16:17]
	s_wait_xcnt 0x1
	v_lshl_add_u64 v[14:15], v[0:1], 3, s[14:15]
	s_load_b64 s[14:15], s[16:17], s21 offset:0x0 scale_offset
	flat_load_b64 v[14:15], v[14:15]
	s_wait_kmcnt 0x0
	s_add_nc_u64 s[14:15], s[14:15], s[0:1]
	s_delay_alu instid0(SALU_CYCLE_1)
	v_lshl_add_u64 v[16:17], v[10:11], 3, s[14:15]
	flat_load_b64 v[22:23], v[16:17]
	s_wait_loadcnt_dscnt 0x303
	v_mul_f64_e32 v[18:19], v[2:3], v[18:19]
	v_mul_f64_e32 v[12:13], v[2:3], v[12:13]
	s_wait_loadcnt_dscnt 0x202
	s_delay_alu instid0(VALU_DEP_1) | instskip(SKIP_1) | instid1(VALU_DEP_1)
	v_mul_f64_e32 v[12:13], v[12:13], v[20:21]
	s_wait_loadcnt_dscnt 0x101
	v_fmac_f64_e32 v[12:13], v[18:19], v[14:15]
	s_wait_loadcnt_dscnt 0x0
	s_delay_alu instid0(VALU_DEP_1)
	v_add_f64_e32 v[12:13], v[22:23], v[12:13]
	flat_store_b64 v[16:17], v[12:13]
	s_branch .LBB3_5
.LBB3_12:
	s_endpgm
	.section	.rodata,"a",@progbits
	.p2align	6, 0x0
	.amdhsa_kernel _ZL19rocblas_spr2_kernelILi128ELi8ELi1E24rocblas_internal_val_ptrIdEPKPKdPKPdEvbbiT2_T3_lllSA_lllT4_lli
		.amdhsa_group_segment_fixed_size 0
		.amdhsa_private_segment_fixed_size 0
		.amdhsa_kernarg_size 108
		.amdhsa_user_sgpr_count 2
		.amdhsa_user_sgpr_dispatch_ptr 0
		.amdhsa_user_sgpr_queue_ptr 0
		.amdhsa_user_sgpr_kernarg_segment_ptr 1
		.amdhsa_user_sgpr_dispatch_id 0
		.amdhsa_user_sgpr_kernarg_preload_length 0
		.amdhsa_user_sgpr_kernarg_preload_offset 0
		.amdhsa_user_sgpr_private_segment_size 0
		.amdhsa_wavefront_size32 1
		.amdhsa_uses_dynamic_stack 0
		.amdhsa_enable_private_segment 0
		.amdhsa_system_sgpr_workgroup_id_x 1
		.amdhsa_system_sgpr_workgroup_id_y 1
		.amdhsa_system_sgpr_workgroup_id_z 1
		.amdhsa_system_sgpr_workgroup_info 0
		.amdhsa_system_vgpr_workitem_id 1
		.amdhsa_next_free_vgpr 24
		.amdhsa_next_free_sgpr 23
		.amdhsa_named_barrier_count 0
		.amdhsa_reserve_vcc 1
		.amdhsa_float_round_mode_32 0
		.amdhsa_float_round_mode_16_64 0
		.amdhsa_float_denorm_mode_32 3
		.amdhsa_float_denorm_mode_16_64 3
		.amdhsa_fp16_overflow 0
		.amdhsa_memory_ordered 1
		.amdhsa_forward_progress 1
		.amdhsa_inst_pref_size 7
		.amdhsa_round_robin_scheduling 0
		.amdhsa_exception_fp_ieee_invalid_op 0
		.amdhsa_exception_fp_denorm_src 0
		.amdhsa_exception_fp_ieee_div_zero 0
		.amdhsa_exception_fp_ieee_overflow 0
		.amdhsa_exception_fp_ieee_underflow 0
		.amdhsa_exception_fp_ieee_inexact 0
		.amdhsa_exception_int_div_zero 0
	.end_amdhsa_kernel
	.section	.text._ZL19rocblas_spr2_kernelILi128ELi8ELi1E24rocblas_internal_val_ptrIdEPKPKdPKPdEvbbiT2_T3_lllSA_lllT4_lli,"axG",@progbits,_ZL19rocblas_spr2_kernelILi128ELi8ELi1E24rocblas_internal_val_ptrIdEPKPKdPKPdEvbbiT2_T3_lllSA_lllT4_lli,comdat
.Lfunc_end3:
	.size	_ZL19rocblas_spr2_kernelILi128ELi8ELi1E24rocblas_internal_val_ptrIdEPKPKdPKPdEvbbiT2_T3_lllSA_lllT4_lli, .Lfunc_end3-_ZL19rocblas_spr2_kernelILi128ELi8ELi1E24rocblas_internal_val_ptrIdEPKPKdPKPdEvbbiT2_T3_lllSA_lllT4_lli
                                        ; -- End function
	.set _ZL19rocblas_spr2_kernelILi128ELi8ELi1E24rocblas_internal_val_ptrIdEPKPKdPKPdEvbbiT2_T3_lllSA_lllT4_lli.num_vgpr, 24
	.set _ZL19rocblas_spr2_kernelILi128ELi8ELi1E24rocblas_internal_val_ptrIdEPKPKdPKPdEvbbiT2_T3_lllSA_lllT4_lli.num_agpr, 0
	.set _ZL19rocblas_spr2_kernelILi128ELi8ELi1E24rocblas_internal_val_ptrIdEPKPKdPKPdEvbbiT2_T3_lllSA_lllT4_lli.numbered_sgpr, 23
	.set _ZL19rocblas_spr2_kernelILi128ELi8ELi1E24rocblas_internal_val_ptrIdEPKPKdPKPdEvbbiT2_T3_lllSA_lllT4_lli.num_named_barrier, 0
	.set _ZL19rocblas_spr2_kernelILi128ELi8ELi1E24rocblas_internal_val_ptrIdEPKPKdPKPdEvbbiT2_T3_lllSA_lllT4_lli.private_seg_size, 0
	.set _ZL19rocblas_spr2_kernelILi128ELi8ELi1E24rocblas_internal_val_ptrIdEPKPKdPKPdEvbbiT2_T3_lllSA_lllT4_lli.uses_vcc, 1
	.set _ZL19rocblas_spr2_kernelILi128ELi8ELi1E24rocblas_internal_val_ptrIdEPKPKdPKPdEvbbiT2_T3_lllSA_lllT4_lli.uses_flat_scratch, 1
	.set _ZL19rocblas_spr2_kernelILi128ELi8ELi1E24rocblas_internal_val_ptrIdEPKPKdPKPdEvbbiT2_T3_lllSA_lllT4_lli.has_dyn_sized_stack, 0
	.set _ZL19rocblas_spr2_kernelILi128ELi8ELi1E24rocblas_internal_val_ptrIdEPKPKdPKPdEvbbiT2_T3_lllSA_lllT4_lli.has_recursion, 0
	.set _ZL19rocblas_spr2_kernelILi128ELi8ELi1E24rocblas_internal_val_ptrIdEPKPKdPKPdEvbbiT2_T3_lllSA_lllT4_lli.has_indirect_call, 0
	.section	.AMDGPU.csdata,"",@progbits
; Kernel info:
; codeLenInByte = 800
; TotalNumSgprs: 25
; NumVgprs: 24
; ScratchSize: 0
; MemoryBound: 0
; FloatMode: 240
; IeeeMode: 1
; LDSByteSize: 0 bytes/workgroup (compile time only)
; SGPRBlocks: 0
; VGPRBlocks: 1
; NumSGPRsForWavesPerEU: 25
; NumVGPRsForWavesPerEU: 24
; NamedBarCnt: 0
; Occupancy: 16
; WaveLimiterHint : 1
; COMPUTE_PGM_RSRC2:SCRATCH_EN: 0
; COMPUTE_PGM_RSRC2:USER_SGPR: 2
; COMPUTE_PGM_RSRC2:TRAP_HANDLER: 0
; COMPUTE_PGM_RSRC2:TGID_X_EN: 1
; COMPUTE_PGM_RSRC2:TGID_Y_EN: 1
; COMPUTE_PGM_RSRC2:TGID_Z_EN: 1
; COMPUTE_PGM_RSRC2:TIDIG_COMP_CNT: 1
	.section	.AMDGPU.gpr_maximums,"",@progbits
	.set amdgpu.max_num_vgpr, 0
	.set amdgpu.max_num_agpr, 0
	.set amdgpu.max_num_sgpr, 0
	.section	.AMDGPU.csdata,"",@progbits
	.type	__hip_cuid_b24233527f951eb5,@object ; @__hip_cuid_b24233527f951eb5
	.section	.bss,"aw",@nobits
	.globl	__hip_cuid_b24233527f951eb5
__hip_cuid_b24233527f951eb5:
	.byte	0                               ; 0x0
	.size	__hip_cuid_b24233527f951eb5, 1

	.ident	"AMD clang version 22.0.0git (https://github.com/RadeonOpenCompute/llvm-project roc-7.2.4 26084 f58b06dce1f9c15707c5f808fd002e18c2accf7e)"
	.section	".note.GNU-stack","",@progbits
	.addrsig
	.addrsig_sym __hip_cuid_b24233527f951eb5
	.amdgpu_metadata
---
amdhsa.kernels:
  - .args:
      - .offset:         0
        .size:           1
        .value_kind:     by_value
      - .offset:         1
        .size:           1
        .value_kind:     by_value
      - .offset:         4
        .size:           4
        .value_kind:     by_value
      - .offset:         8
        .size:           8
        .value_kind:     by_value
      - .address_space:  global
        .offset:         16
        .size:           8
        .value_kind:     global_buffer
      - .offset:         24
        .size:           8
        .value_kind:     by_value
      - .offset:         32
        .size:           8
        .value_kind:     by_value
      - .offset:         40
        .size:           8
        .value_kind:     by_value
      - .address_space:  global
        .offset:         48
        .size:           8
        .value_kind:     global_buffer
      - .offset:         56
        .size:           8
        .value_kind:     by_value
      - .offset:         64
        .size:           8
        .value_kind:     by_value
      - .offset:         72
        .size:           8
        .value_kind:     by_value
      - .address_space:  global
        .offset:         80
        .size:           8
        .value_kind:     global_buffer
      - .offset:         88
        .size:           8
        .value_kind:     by_value
      - .offset:         96
        .size:           8
        .value_kind:     by_value
      - .offset:         104
        .size:           4
        .value_kind:     by_value
    .group_segment_fixed_size: 0
    .kernarg_segment_align: 8
    .kernarg_segment_size: 108
    .language:       OpenCL C
    .language_version:
      - 2
      - 0
    .max_flat_workgroup_size: 1024
    .name:           _ZL19rocblas_spr2_kernelILi128ELi8ELi2E24rocblas_internal_val_ptrIfEPKfPfEvbbiT2_T3_lllS6_lllT4_lli
    .private_segment_fixed_size: 0
    .sgpr_count:     36
    .sgpr_spill_count: 0
    .symbol:         _ZL19rocblas_spr2_kernelILi128ELi8ELi2E24rocblas_internal_val_ptrIfEPKfPfEvbbiT2_T3_lllS6_lllT4_lli.kd
    .uniform_work_group_size: 1
    .uses_dynamic_stack: false
    .vgpr_count:     27
    .vgpr_spill_count: 0
    .wavefront_size: 32
  - .args:
      - .offset:         0
        .size:           1
        .value_kind:     by_value
      - .offset:         1
        .size:           1
        .value_kind:     by_value
      - .offset:         4
        .size:           4
        .value_kind:     by_value
      - .offset:         8
        .size:           8
        .value_kind:     by_value
      - .address_space:  global
        .offset:         16
        .size:           8
        .value_kind:     global_buffer
      - .offset:         24
        .size:           8
        .value_kind:     by_value
      - .offset:         32
        .size:           8
        .value_kind:     by_value
      - .offset:         40
        .size:           8
        .value_kind:     by_value
      - .address_space:  global
        .offset:         48
        .size:           8
        .value_kind:     global_buffer
      - .offset:         56
        .size:           8
        .value_kind:     by_value
      - .offset:         64
        .size:           8
        .value_kind:     by_value
      - .offset:         72
        .size:           8
        .value_kind:     by_value
      - .address_space:  global
        .offset:         80
        .size:           8
        .value_kind:     global_buffer
      - .offset:         88
        .size:           8
        .value_kind:     by_value
      - .offset:         96
        .size:           8
        .value_kind:     by_value
      - .offset:         104
        .size:           4
        .value_kind:     by_value
    .group_segment_fixed_size: 0
    .kernarg_segment_align: 8
    .kernarg_segment_size: 108
    .language:       OpenCL C
    .language_version:
      - 2
      - 0
    .max_flat_workgroup_size: 1024
    .name:           _ZL19rocblas_spr2_kernelILi128ELi8ELi1E24rocblas_internal_val_ptrIdEPKdPdEvbbiT2_T3_lllS6_lllT4_lli
    .private_segment_fixed_size: 0
    .sgpr_count:     36
    .sgpr_spill_count: 0
    .symbol:         _ZL19rocblas_spr2_kernelILi128ELi8ELi1E24rocblas_internal_val_ptrIdEPKdPdEvbbiT2_T3_lllS6_lllT4_lli.kd
    .uniform_work_group_size: 1
    .uses_dynamic_stack: false
    .vgpr_count:     24
    .vgpr_spill_count: 0
    .wavefront_size: 32
  - .args:
      - .offset:         0
        .size:           1
        .value_kind:     by_value
      - .offset:         1
        .size:           1
        .value_kind:     by_value
      - .offset:         4
        .size:           4
        .value_kind:     by_value
      - .offset:         8
        .size:           8
        .value_kind:     by_value
      - .address_space:  global
        .offset:         16
        .size:           8
        .value_kind:     global_buffer
      - .offset:         24
        .size:           8
        .value_kind:     by_value
      - .offset:         32
        .size:           8
        .value_kind:     by_value
      - .offset:         40
        .size:           8
        .value_kind:     by_value
      - .address_space:  global
        .offset:         48
        .size:           8
        .value_kind:     global_buffer
      - .offset:         56
        .size:           8
        .value_kind:     by_value
      - .offset:         64
        .size:           8
        .value_kind:     by_value
      - .offset:         72
        .size:           8
        .value_kind:     by_value
      - .address_space:  global
        .offset:         80
        .size:           8
        .value_kind:     global_buffer
      - .offset:         88
        .size:           8
        .value_kind:     by_value
      - .offset:         96
        .size:           8
        .value_kind:     by_value
      - .offset:         104
        .size:           4
        .value_kind:     by_value
    .group_segment_fixed_size: 0
    .kernarg_segment_align: 8
    .kernarg_segment_size: 108
    .language:       OpenCL C
    .language_version:
      - 2
      - 0
    .max_flat_workgroup_size: 1024
    .name:           _ZL19rocblas_spr2_kernelILi128ELi8ELi2E24rocblas_internal_val_ptrIfEPKPKfPKPfEvbbiT2_T3_lllSA_lllT4_lli
    .private_segment_fixed_size: 0
    .sgpr_count:     33
    .sgpr_spill_count: 0
    .symbol:         _ZL19rocblas_spr2_kernelILi128ELi8ELi2E24rocblas_internal_val_ptrIfEPKPKfPKPfEvbbiT2_T3_lllSA_lllT4_lli.kd
    .uniform_work_group_size: 1
    .uses_dynamic_stack: false
    .vgpr_count:     27
    .vgpr_spill_count: 0
    .wavefront_size: 32
  - .args:
      - .offset:         0
        .size:           1
        .value_kind:     by_value
      - .offset:         1
        .size:           1
        .value_kind:     by_value
      - .offset:         4
        .size:           4
        .value_kind:     by_value
      - .offset:         8
        .size:           8
        .value_kind:     by_value
      - .address_space:  global
        .offset:         16
        .size:           8
        .value_kind:     global_buffer
      - .offset:         24
        .size:           8
        .value_kind:     by_value
      - .offset:         32
        .size:           8
        .value_kind:     by_value
      - .offset:         40
        .size:           8
        .value_kind:     by_value
      - .address_space:  global
        .offset:         48
        .size:           8
        .value_kind:     global_buffer
      - .offset:         56
        .size:           8
        .value_kind:     by_value
      - .offset:         64
        .size:           8
        .value_kind:     by_value
      - .offset:         72
        .size:           8
        .value_kind:     by_value
      - .address_space:  global
        .offset:         80
        .size:           8
        .value_kind:     global_buffer
      - .offset:         88
        .size:           8
        .value_kind:     by_value
      - .offset:         96
        .size:           8
        .value_kind:     by_value
      - .offset:         104
        .size:           4
        .value_kind:     by_value
    .group_segment_fixed_size: 0
    .kernarg_segment_align: 8
    .kernarg_segment_size: 108
    .language:       OpenCL C
    .language_version:
      - 2
      - 0
    .max_flat_workgroup_size: 1024
    .name:           _ZL19rocblas_spr2_kernelILi128ELi8ELi1E24rocblas_internal_val_ptrIdEPKPKdPKPdEvbbiT2_T3_lllSA_lllT4_lli
    .private_segment_fixed_size: 0
    .sgpr_count:     25
    .sgpr_spill_count: 0
    .symbol:         _ZL19rocblas_spr2_kernelILi128ELi8ELi1E24rocblas_internal_val_ptrIdEPKPKdPKPdEvbbiT2_T3_lllSA_lllT4_lli.kd
    .uniform_work_group_size: 1
    .uses_dynamic_stack: false
    .vgpr_count:     24
    .vgpr_spill_count: 0
    .wavefront_size: 32
amdhsa.target:   amdgcn-amd-amdhsa--gfx1250
amdhsa.version:
  - 1
  - 2
...

	.end_amdgpu_metadata
